;; amdgpu-corpus repo=zjin-lcf/HeCBench kind=compiled arch=gfx906 opt=O3
	.amdgcn_target "amdgcn-amd-amdhsa--gfx906"
	.amdhsa_code_object_version 6
	.text
	.protected	_Z6rotateif15HIP_vector_typeIfLj3EEPS0_ ; -- Begin function _Z6rotateif15HIP_vector_typeIfLj3EEPS0_
	.globl	_Z6rotateif15HIP_vector_typeIfLj3EEPS0_
	.p2align	8
	.type	_Z6rotateif15HIP_vector_typeIfLj3EEPS0_,@function
_Z6rotateif15HIP_vector_typeIfLj3EEPS0_: ; @_Z6rotateif15HIP_vector_typeIfLj3EEPS0_
; %bb.0:
	s_load_dword s7, s[4:5], 0x2c
	s_load_dwordx4 s[0:3], s[4:5], 0x0
	s_waitcnt lgkmcnt(0)
	s_and_b32 s7, s7, 0xffff
	s_mul_i32 s6, s6, s7
	v_add_u32_e32 v0, s6, v0
	v_cmp_gt_i32_e32 vcc, s0, v0
	s_and_saveexec_b64 s[6:7], vcc
	s_cbranch_execz .LBB0_6
; %bb.1:
	s_load_dword s0, s[4:5], 0x10
	v_bfrev_b32_e32 v1, 18
	v_cmp_nlt_f32_e64 s[6:7], |s1|, v1
	s_and_b32 s8, s1, 0x7fffffff
	s_and_b64 vcc, exec, s[6:7]
	s_cbranch_vccz .LBB0_3
; %bb.2:
	s_and_b32 s7, s8, 0x7fffff
	s_lshr_b32 s6, s8, 23
	s_bitset1_b32 s7, 23
	s_addk_i32 s6, 0xff88
	s_mul_hi_u32 s9, s7, 0xfe5163ab
	s_mul_i32 s11, s7, 0x3c439041
	s_mul_hi_u32 s10, s7, 0x3c439041
	s_add_u32 s9, s9, s11
	s_addc_u32 s10, 0, s10
	s_mul_i32 s12, s7, 0xdb629599
	s_mul_hi_u32 s11, s7, 0xdb629599
	s_add_u32 s10, s10, s12
	s_addc_u32 s11, 0, s11
	;; [unrolled: 4-line block ×5, first 2 shown]
	s_cmp_gt_u32 s6, 63
	s_mul_i32 s15, s7, 0xfe5163ab
	s_mul_hi_u32 s16, s7, 0xa2f9836e
	s_mul_i32 s7, s7, 0xa2f9836e
	s_cselect_b32 s17, s10, s12
	s_cselect_b32 s9, s9, s11
	;; [unrolled: 1-line block ×3, first 2 shown]
	s_add_u32 s7, s14, s7
	s_addc_u32 s14, 0, s16
	s_cmp_gt_u32 s6, 63
	s_cselect_b32 s15, 0xffffffc0, 0
	s_cselect_b32 s11, s11, s13
	;; [unrolled: 1-line block ×4, first 2 shown]
	s_add_i32 s15, s15, s6
	s_cmp_gt_u32 s15, 31
	s_cselect_b32 s6, 0xffffffe0, 0
	s_cselect_b32 s13, s11, s7
	;; [unrolled: 1-line block ×6, first 2 shown]
	s_add_i32 s6, s6, s15
	s_cmp_gt_u32 s6, 31
	s_cselect_b32 s10, 0xffffffe0, 0
	s_cselect_b32 s7, s13, s7
	;; [unrolled: 1-line block ×5, first 2 shown]
	s_add_i32 s10, s10, s6
	s_sub_i32 s6, 32, s10
	v_mov_b32_e32 v1, s13
	v_mov_b32_e32 v2, s6
	v_alignbit_b32 v3, s7, v1, v2
	s_cmp_eq_u32 s10, 0
	v_readfirstlane_b32 s6, v3
	v_mov_b32_e32 v3, s11
	v_alignbit_b32 v4, s13, v3, v2
	s_cselect_b64 vcc, -1, 0
	s_cselect_b32 s6, s7, s6
	v_cndmask_b32_e32 v1, v4, v1, vcc
	v_alignbit_b32 v4, s6, v1, 30
	v_mov_b32_e32 v5, s9
	s_bfe_u32 s10, s6, 0x1001d
	v_alignbit_b32 v2, s11, v5, v2
	s_sub_i32 s11, 0, s10
	v_readfirstlane_b32 s12, v4
	s_xor_b32 s12, s12, s11
	s_flbit_i32_b32 s13, s12
	v_cndmask_b32_e32 v2, v2, v3, vcc
	s_min_u32 s13, s13, 32
	v_alignbit_b32 v1, v1, v2, 30
	s_sub_i32 s14, 31, s13
	v_alignbit_b32 v2, v2, s9, 30
	v_xor_b32_e32 v1, s11, v1
	v_mov_b32_e32 v3, s14
	v_xor_b32_e32 v2, s11, v2
	v_alignbit_b32 v3, s12, v1, v3
	v_alignbit_b32 v1, v1, v2, s14
	;; [unrolled: 1-line block ×3, first 2 shown]
	v_readfirstlane_b32 s9, v2
	s_flbit_i32_b32 s9, s9
	s_lshr_b32 s7, s6, 29
	s_min_u32 s9, s9, 32
	s_not_b32 s11, s9
	s_add_i32 s9, s9, s13
	s_lshl_b32 s7, s7, 31
	v_alignbit_b32 v1, v2, v1, s11
	s_or_b32 s11, s7, 0x33000000
	s_lshl_b32 s9, s9, 23
	v_lshrrev_b32_e32 v1, 9, v1
	s_sub_i32 s9, s11, s9
	v_or_b32_e32 v1, s9, v1
	s_or_b32 s7, s7, 0.5
	s_lshl_b32 s9, s13, 23
	v_lshrrev_b32_e32 v2, 9, v3
	s_sub_i32 s7, s7, s9
	v_or_b32_e32 v2, s7, v2
	s_mov_b32 s7, 0x3fc90fda
	v_mul_f32_e32 v3, 0x3fc90fda, v2
	v_fma_f32 v4, v2, s7, -v3
	v_fmac_f32_e32 v4, 0x33a22168, v2
	v_fmac_f32_e32 v4, 0x3fc90fda, v1
	s_lshr_b32 s6, s6, 30
	v_add_f32_e32 v1, v3, v4
	s_add_i32 s9, s10, s6
	v_mov_b32_e32 v2, s9
	s_cbranch_execz .LBB0_4
	s_branch .LBB0_5
.LBB0_3:
                                        ; implicit-def: $sgpr9
                                        ; implicit-def: $vgpr1
	v_mov_b32_e32 v2, s9
.LBB0_4:
	v_mov_b32_e32 v1, 0x3f22f983
	v_mul_f32_e64 v1, |s1|, v1
	v_rndne_f32_e32 v3, v1
	s_mov_b32 s6, 0xbfc90fda
	v_mov_b32_e32 v1, s1
	v_cvt_i32_f32_e32 v2, v3
	v_fma_f32 v1, v3, s6, |v1|
	v_fmac_f32_e32 v1, 0xb3a22168, v3
	v_fmac_f32_e32 v1, 0xa7c234c4, v3
.LBB0_5:
	s_load_dwordx2 s[4:5], s[4:5], 0x18
	v_mov_b32_e32 v8, 0x3c0881c4
	v_mov_b32_e32 v10, 0xbab64f3b
	;; [unrolled: 1-line block ×4, first 2 shown]
	s_waitcnt lgkmcnt(0)
	v_mad_i64_i32 v[6:7], s[4:5], v0, 12, s[4:5]
	v_mul_f32_e32 v0, v1, v1
	v_fmac_f32_e32 v8, 0xb94c1982, v0
	global_load_dwordx3 v[3:5], v[6:7], off
	v_fmac_f32_e32 v10, 0x37d75334, v0
	v_mov_b32_e32 v12, 0xbf000004
	v_fmac_f32_e32 v9, v0, v8
	v_fmac_f32_e32 v11, v0, v10
	v_lshlrev_b32_e32 v13, 30, v2
	v_and_b32_e32 v2, 1, v2
	v_mul_f32_e32 v9, v0, v9
	v_fmac_f32_e32 v12, v0, v11
	v_fmac_f32_e32 v1, v1, v9
	v_fma_f32 v0, v0, v12, 1.0
	v_cmp_eq_u32_e32 vcc, 0, v2
	s_xor_b32 s4, s8, s1
	v_xor_b32_e32 v9, 0x80000000, v1
	v_cndmask_b32_e32 v1, v0, v1, vcc
	v_mov_b32_e32 v14, 0x1f8
	v_and_b32_e32 v13, 0x80000000, v13
	v_cndmask_b32_e32 v0, v9, v0, vcc
	v_xor_b32_e32 v1, s4, v1
	v_mov_b32_e32 v15, 0x7fc00000
	v_xor_b32_e32 v1, v1, v13
	v_xor_b32_e32 v0, v0, v13
	v_cmp_class_f32_e32 vcc, s1, v14
	v_mov_b32_e32 v17, s3
	v_mov_b32_e32 v18, s0
	v_cndmask_b32_e32 v9, v15, v0, vcc
	v_cndmask_b32_e32 v0, v15, v1, vcc
	v_mul_f32_e64 v19, s3, s3
	v_mul_f32_e32 v17, s2, v17
	v_mul_f32_e32 v10, s2, v18
	;; [unrolled: 1-line block ×3, first 2 shown]
	v_sub_f32_e32 v1, 1.0, v9
	v_mul_f32_e32 v2, s0, v0
	v_mul_f32_e32 v11, s2, v0
	v_mul_f32_e64 v16, s2, s2
	v_mul_f32_e64 v8, s0, s0
	v_fma_f32 v13, v17, v1, v2
	v_mul_f32_e32 v10, v10, v1
	v_fma_f32 v14, v17, v1, -v2
	v_fma_f32 v2, v19, v1, v9
	v_fma_f32 v15, v18, v1, v11
	v_fma_f32 v11, v18, v1, -v11
	v_fma_f32 v12, v16, v1, v9
	v_fmac_f32_e32 v9, v8, v1
	v_fma_f32 v8, -s3, v0, v10
	v_fmac_f32_e32 v10, s3, v0
	s_waitcnt vmcnt(0)
	v_mul_f32_e32 v0, v4, v13
	v_mul_f32_e32 v1, v4, v2
	;; [unrolled: 1-line block ×3, first 2 shown]
	v_fmac_f32_e32 v0, v3, v12
	v_fmac_f32_e32 v1, v3, v14
	;; [unrolled: 1-line block ×6, first 2 shown]
	global_store_dwordx3 v[6:7], v[0:2], off
.LBB0_6:
	s_endpgm
	.section	.rodata,"a",@progbits
	.p2align	6, 0x0
	.amdhsa_kernel _Z6rotateif15HIP_vector_typeIfLj3EEPS0_
		.amdhsa_group_segment_fixed_size 0
		.amdhsa_private_segment_fixed_size 0
		.amdhsa_kernarg_size 288
		.amdhsa_user_sgpr_count 6
		.amdhsa_user_sgpr_private_segment_buffer 1
		.amdhsa_user_sgpr_dispatch_ptr 0
		.amdhsa_user_sgpr_queue_ptr 0
		.amdhsa_user_sgpr_kernarg_segment_ptr 1
		.amdhsa_user_sgpr_dispatch_id 0
		.amdhsa_user_sgpr_flat_scratch_init 0
		.amdhsa_user_sgpr_private_segment_size 0
		.amdhsa_uses_dynamic_stack 0
		.amdhsa_system_sgpr_private_segment_wavefront_offset 0
		.amdhsa_system_sgpr_workgroup_id_x 1
		.amdhsa_system_sgpr_workgroup_id_y 0
		.amdhsa_system_sgpr_workgroup_id_z 0
		.amdhsa_system_sgpr_workgroup_info 0
		.amdhsa_system_vgpr_workitem_id 0
		.amdhsa_next_free_vgpr 20
		.amdhsa_next_free_sgpr 18
		.amdhsa_reserve_vcc 1
		.amdhsa_reserve_flat_scratch 0
		.amdhsa_float_round_mode_32 0
		.amdhsa_float_round_mode_16_64 0
		.amdhsa_float_denorm_mode_32 3
		.amdhsa_float_denorm_mode_16_64 3
		.amdhsa_dx10_clamp 1
		.amdhsa_ieee_mode 1
		.amdhsa_fp16_overflow 0
		.amdhsa_exception_fp_ieee_invalid_op 0
		.amdhsa_exception_fp_denorm_src 0
		.amdhsa_exception_fp_ieee_div_zero 0
		.amdhsa_exception_fp_ieee_overflow 0
		.amdhsa_exception_fp_ieee_underflow 0
		.amdhsa_exception_fp_ieee_inexact 0
		.amdhsa_exception_int_div_zero 0
	.end_amdhsa_kernel
	.text
.Lfunc_end0:
	.size	_Z6rotateif15HIP_vector_typeIfLj3EEPS0_, .Lfunc_end0-_Z6rotateif15HIP_vector_typeIfLj3EEPS0_
                                        ; -- End function
	.set _Z6rotateif15HIP_vector_typeIfLj3EEPS0_.num_vgpr, 20
	.set _Z6rotateif15HIP_vector_typeIfLj3EEPS0_.num_agpr, 0
	.set _Z6rotateif15HIP_vector_typeIfLj3EEPS0_.numbered_sgpr, 18
	.set _Z6rotateif15HIP_vector_typeIfLj3EEPS0_.num_named_barrier, 0
	.set _Z6rotateif15HIP_vector_typeIfLj3EEPS0_.private_seg_size, 0
	.set _Z6rotateif15HIP_vector_typeIfLj3EEPS0_.uses_vcc, 1
	.set _Z6rotateif15HIP_vector_typeIfLj3EEPS0_.uses_flat_scratch, 0
	.set _Z6rotateif15HIP_vector_typeIfLj3EEPS0_.has_dyn_sized_stack, 0
	.set _Z6rotateif15HIP_vector_typeIfLj3EEPS0_.has_recursion, 0
	.set _Z6rotateif15HIP_vector_typeIfLj3EEPS0_.has_indirect_call, 0
	.section	.AMDGPU.csdata,"",@progbits
; Kernel info:
; codeLenInByte = 1116
; TotalNumSgprs: 22
; NumVgprs: 20
; ScratchSize: 0
; MemoryBound: 0
; FloatMode: 240
; IeeeMode: 1
; LDSByteSize: 0 bytes/workgroup (compile time only)
; SGPRBlocks: 2
; VGPRBlocks: 4
; NumSGPRsForWavesPerEU: 22
; NumVGPRsForWavesPerEU: 20
; Occupancy: 10
; WaveLimiterHint : 0
; COMPUTE_PGM_RSRC2:SCRATCH_EN: 0
; COMPUTE_PGM_RSRC2:USER_SGPR: 6
; COMPUTE_PGM_RSRC2:TRAP_HANDLER: 0
; COMPUTE_PGM_RSRC2:TGID_X_EN: 1
; COMPUTE_PGM_RSRC2:TGID_Y_EN: 0
; COMPUTE_PGM_RSRC2:TGID_Z_EN: 0
; COMPUTE_PGM_RSRC2:TIDIG_COMP_CNT: 0
	.text
	.protected	_Z7rotate2if15HIP_vector_typeIfLj3EEPS_IfLj4EE ; -- Begin function _Z7rotate2if15HIP_vector_typeIfLj3EEPS_IfLj4EE
	.globl	_Z7rotate2if15HIP_vector_typeIfLj3EEPS_IfLj4EE
	.p2align	8
	.type	_Z7rotate2if15HIP_vector_typeIfLj3EEPS_IfLj4EE,@function
_Z7rotate2if15HIP_vector_typeIfLj3EEPS_IfLj4EE: ; @_Z7rotate2if15HIP_vector_typeIfLj3EEPS_IfLj4EE
; %bb.0:
	s_load_dword s7, s[4:5], 0x2c
	s_load_dwordx4 s[0:3], s[4:5], 0x0
	s_waitcnt lgkmcnt(0)
	s_and_b32 s7, s7, 0xffff
	s_mul_i32 s6, s6, s7
	v_add_u32_e32 v0, s6, v0
	v_cmp_gt_i32_e32 vcc, s0, v0
	s_and_saveexec_b64 s[6:7], vcc
	s_cbranch_execz .LBB1_6
; %bb.1:
	s_load_dword s0, s[4:5], 0x10
	v_bfrev_b32_e32 v1, 18
	v_cmp_nlt_f32_e64 s[6:7], |s1|, v1
	s_and_b32 s8, s1, 0x7fffffff
	s_and_b64 vcc, exec, s[6:7]
	s_cbranch_vccz .LBB1_3
; %bb.2:
	s_and_b32 s7, s8, 0x7fffff
	s_lshr_b32 s6, s8, 23
	s_bitset1_b32 s7, 23
	s_addk_i32 s6, 0xff88
	s_mul_hi_u32 s9, s7, 0xfe5163ab
	s_mul_i32 s11, s7, 0x3c439041
	s_mul_hi_u32 s10, s7, 0x3c439041
	s_add_u32 s9, s9, s11
	s_addc_u32 s10, 0, s10
	s_mul_i32 s12, s7, 0xdb629599
	s_mul_hi_u32 s11, s7, 0xdb629599
	s_add_u32 s10, s10, s12
	s_addc_u32 s11, 0, s11
	;; [unrolled: 4-line block ×5, first 2 shown]
	s_cmp_gt_u32 s6, 63
	s_mul_i32 s15, s7, 0xfe5163ab
	s_mul_hi_u32 s16, s7, 0xa2f9836e
	s_mul_i32 s7, s7, 0xa2f9836e
	s_cselect_b32 s17, s10, s12
	s_cselect_b32 s9, s9, s11
	;; [unrolled: 1-line block ×3, first 2 shown]
	s_add_u32 s7, s14, s7
	s_addc_u32 s14, 0, s16
	s_cmp_gt_u32 s6, 63
	s_cselect_b32 s15, 0xffffffc0, 0
	s_cselect_b32 s11, s11, s13
	;; [unrolled: 1-line block ×4, first 2 shown]
	s_add_i32 s15, s15, s6
	s_cmp_gt_u32 s15, 31
	s_cselect_b32 s6, 0xffffffe0, 0
	s_cselect_b32 s13, s11, s7
	;; [unrolled: 1-line block ×6, first 2 shown]
	s_add_i32 s6, s6, s15
	s_cmp_gt_u32 s6, 31
	s_cselect_b32 s10, 0xffffffe0, 0
	s_cselect_b32 s7, s13, s7
	;; [unrolled: 1-line block ×5, first 2 shown]
	s_add_i32 s10, s10, s6
	s_sub_i32 s6, 32, s10
	v_mov_b32_e32 v1, s13
	v_mov_b32_e32 v2, s6
	v_alignbit_b32 v3, s7, v1, v2
	s_cmp_eq_u32 s10, 0
	v_readfirstlane_b32 s6, v3
	v_mov_b32_e32 v3, s11
	v_alignbit_b32 v4, s13, v3, v2
	s_cselect_b64 vcc, -1, 0
	s_cselect_b32 s6, s7, s6
	v_cndmask_b32_e32 v1, v4, v1, vcc
	v_alignbit_b32 v4, s6, v1, 30
	v_mov_b32_e32 v5, s9
	s_bfe_u32 s10, s6, 0x1001d
	v_alignbit_b32 v2, s11, v5, v2
	s_sub_i32 s11, 0, s10
	v_readfirstlane_b32 s12, v4
	s_xor_b32 s12, s12, s11
	s_flbit_i32_b32 s13, s12
	v_cndmask_b32_e32 v2, v2, v3, vcc
	s_min_u32 s13, s13, 32
	v_alignbit_b32 v1, v1, v2, 30
	s_sub_i32 s14, 31, s13
	v_alignbit_b32 v2, v2, s9, 30
	v_xor_b32_e32 v1, s11, v1
	v_mov_b32_e32 v3, s14
	v_xor_b32_e32 v2, s11, v2
	v_alignbit_b32 v3, s12, v1, v3
	v_alignbit_b32 v1, v1, v2, s14
	v_alignbit_b32 v2, v3, v1, 9
	v_readfirstlane_b32 s9, v2
	s_flbit_i32_b32 s9, s9
	s_lshr_b32 s7, s6, 29
	s_min_u32 s9, s9, 32
	s_not_b32 s11, s9
	s_add_i32 s9, s9, s13
	s_lshl_b32 s7, s7, 31
	v_alignbit_b32 v1, v2, v1, s11
	s_or_b32 s11, s7, 0x33000000
	s_lshl_b32 s9, s9, 23
	v_lshrrev_b32_e32 v1, 9, v1
	s_sub_i32 s9, s11, s9
	v_or_b32_e32 v1, s9, v1
	s_or_b32 s7, s7, 0.5
	s_lshl_b32 s9, s13, 23
	v_lshrrev_b32_e32 v2, 9, v3
	s_sub_i32 s7, s7, s9
	v_or_b32_e32 v2, s7, v2
	s_mov_b32 s7, 0x3fc90fda
	v_mul_f32_e32 v3, 0x3fc90fda, v2
	v_fma_f32 v4, v2, s7, -v3
	v_fmac_f32_e32 v4, 0x33a22168, v2
	v_fmac_f32_e32 v4, 0x3fc90fda, v1
	s_lshr_b32 s6, s6, 30
	v_add_f32_e32 v2, v3, v4
	s_add_i32 s9, s10, s6
	v_mov_b32_e32 v3, s9
	s_cbranch_execz .LBB1_4
	s_branch .LBB1_5
.LBB1_3:
                                        ; implicit-def: $sgpr9
                                        ; implicit-def: $vgpr2
	v_mov_b32_e32 v3, s9
.LBB1_4:
	v_mov_b32_e32 v1, 0x3f22f983
	v_mul_f32_e64 v1, |s1|, v1
	v_rndne_f32_e32 v1, v1
	s_mov_b32 s6, 0xbfc90fda
	v_mov_b32_e32 v2, s1
	v_cvt_i32_f32_e32 v3, v1
	v_fma_f32 v2, v1, s6, |v2|
	v_fmac_f32_e32 v2, 0xb3a22168, v1
	v_fmac_f32_e32 v2, 0xa7c234c4, v1
.LBB1_5:
	s_load_dwordx2 s[4:5], s[4:5], 0x18
	v_ashrrev_i32_e32 v1, 31, v0
	v_lshlrev_b64 v[0:1], 4, v[0:1]
	v_mov_b32_e32 v10, 0xbab64f3b
	v_mov_b32_e32 v9, 0xbe2aaa9d
	s_waitcnt lgkmcnt(0)
	v_mov_b32_e32 v4, s5
	v_add_co_u32_e32 v7, vcc, s4, v0
	v_addc_co_u32_e32 v8, vcc, v4, v1, vcc
	global_load_dwordx3 v[4:6], v[7:8], off
	v_mul_f32_e32 v0, v2, v2
	v_mov_b32_e32 v1, 0x3c0881c4
	v_mov_b32_e32 v11, 0x3d2aabf7
	v_fmac_f32_e32 v1, 0xb94c1982, v0
	v_fmac_f32_e32 v10, 0x37d75334, v0
	v_mov_b32_e32 v12, 0xbf000004
	v_fmac_f32_e32 v9, v0, v1
	v_fmac_f32_e32 v11, v0, v10
	v_lshlrev_b32_e32 v13, 30, v3
	v_and_b32_e32 v3, 1, v3
	v_mul_f32_e32 v9, v0, v9
	v_fmac_f32_e32 v12, v0, v11
	v_fmac_f32_e32 v2, v2, v9
	v_fma_f32 v0, v0, v12, 1.0
	v_cmp_eq_u32_e32 vcc, 0, v3
	s_xor_b32 s4, s8, s1
	v_xor_b32_e32 v9, 0x80000000, v2
	v_cndmask_b32_e32 v2, v0, v2, vcc
	v_mov_b32_e32 v14, 0x1f8
	v_and_b32_e32 v13, 0x80000000, v13
	v_cndmask_b32_e32 v0, v9, v0, vcc
	v_xor_b32_e32 v2, s4, v2
	v_mov_b32_e32 v15, 0x7fc00000
	v_xor_b32_e32 v2, v2, v13
	v_xor_b32_e32 v0, v0, v13
	v_cmp_class_f32_e32 vcc, s1, v14
	v_mov_b32_e32 v17, s3
	v_mov_b32_e32 v18, s0
	v_cndmask_b32_e32 v3, v15, v0, vcc
	v_cndmask_b32_e32 v0, v15, v2, vcc
	v_mul_f32_e64 v19, s3, s3
	v_mul_f32_e32 v17, s2, v17
	v_mul_f32_e32 v10, s2, v18
	;; [unrolled: 1-line block ×3, first 2 shown]
	v_sub_f32_e32 v2, 1.0, v3
	v_mul_f32_e32 v9, s0, v0
	v_mul_f32_e32 v11, s2, v0
	v_mul_f32_e64 v16, s2, s2
	v_mul_f32_e64 v1, s0, s0
	v_fma_f32 v13, v17, v2, v9
	v_mul_f32_e32 v10, v10, v2
	v_fma_f32 v14, v19, v2, v3
	v_fma_f32 v15, v18, v2, v11
	v_fma_f32 v11, v18, v2, -v11
	v_fma_f32 v12, v16, v2, v3
	v_fma_f32 v9, v17, v2, -v9
	v_fmac_f32_e32 v3, v1, v2
	v_fma_f32 v16, -s3, v0, v10
	v_fmac_f32_e32 v10, s3, v0
	s_waitcnt vmcnt(0)
	v_mul_f32_e32 v0, v5, v13
	v_mul_f32_e32 v1, v5, v14
	;; [unrolled: 1-line block ×3, first 2 shown]
	v_fmac_f32_e32 v0, v4, v12
	v_fmac_f32_e32 v1, v4, v9
	;; [unrolled: 1-line block ×6, first 2 shown]
	v_mov_b32_e32 v3, 0
	global_store_dwordx4 v[7:8], v[0:3], off
.LBB1_6:
	s_endpgm
	.section	.rodata,"a",@progbits
	.p2align	6, 0x0
	.amdhsa_kernel _Z7rotate2if15HIP_vector_typeIfLj3EEPS_IfLj4EE
		.amdhsa_group_segment_fixed_size 0
		.amdhsa_private_segment_fixed_size 0
		.amdhsa_kernarg_size 288
		.amdhsa_user_sgpr_count 6
		.amdhsa_user_sgpr_private_segment_buffer 1
		.amdhsa_user_sgpr_dispatch_ptr 0
		.amdhsa_user_sgpr_queue_ptr 0
		.amdhsa_user_sgpr_kernarg_segment_ptr 1
		.amdhsa_user_sgpr_dispatch_id 0
		.amdhsa_user_sgpr_flat_scratch_init 0
		.amdhsa_user_sgpr_private_segment_size 0
		.amdhsa_uses_dynamic_stack 0
		.amdhsa_system_sgpr_private_segment_wavefront_offset 0
		.amdhsa_system_sgpr_workgroup_id_x 1
		.amdhsa_system_sgpr_workgroup_id_y 0
		.amdhsa_system_sgpr_workgroup_id_z 0
		.amdhsa_system_sgpr_workgroup_info 0
		.amdhsa_system_vgpr_workitem_id 0
		.amdhsa_next_free_vgpr 20
		.amdhsa_next_free_sgpr 18
		.amdhsa_reserve_vcc 1
		.amdhsa_reserve_flat_scratch 0
		.amdhsa_float_round_mode_32 0
		.amdhsa_float_round_mode_16_64 0
		.amdhsa_float_denorm_mode_32 3
		.amdhsa_float_denorm_mode_16_64 3
		.amdhsa_dx10_clamp 1
		.amdhsa_ieee_mode 1
		.amdhsa_fp16_overflow 0
		.amdhsa_exception_fp_ieee_invalid_op 0
		.amdhsa_exception_fp_denorm_src 0
		.amdhsa_exception_fp_ieee_div_zero 0
		.amdhsa_exception_fp_ieee_overflow 0
		.amdhsa_exception_fp_ieee_underflow 0
		.amdhsa_exception_fp_ieee_inexact 0
		.amdhsa_exception_int_div_zero 0
	.end_amdhsa_kernel
	.text
.Lfunc_end1:
	.size	_Z7rotate2if15HIP_vector_typeIfLj3EEPS_IfLj4EE, .Lfunc_end1-_Z7rotate2if15HIP_vector_typeIfLj3EEPS_IfLj4EE
                                        ; -- End function
	.set _Z7rotate2if15HIP_vector_typeIfLj3EEPS_IfLj4EE.num_vgpr, 20
	.set _Z7rotate2if15HIP_vector_typeIfLj3EEPS_IfLj4EE.num_agpr, 0
	.set _Z7rotate2if15HIP_vector_typeIfLj3EEPS_IfLj4EE.numbered_sgpr, 18
	.set _Z7rotate2if15HIP_vector_typeIfLj3EEPS_IfLj4EE.num_named_barrier, 0
	.set _Z7rotate2if15HIP_vector_typeIfLj3EEPS_IfLj4EE.private_seg_size, 0
	.set _Z7rotate2if15HIP_vector_typeIfLj3EEPS_IfLj4EE.uses_vcc, 1
	.set _Z7rotate2if15HIP_vector_typeIfLj3EEPS_IfLj4EE.uses_flat_scratch, 0
	.set _Z7rotate2if15HIP_vector_typeIfLj3EEPS_IfLj4EE.has_dyn_sized_stack, 0
	.set _Z7rotate2if15HIP_vector_typeIfLj3EEPS_IfLj4EE.has_recursion, 0
	.set _Z7rotate2if15HIP_vector_typeIfLj3EEPS_IfLj4EE.has_indirect_call, 0
	.section	.AMDGPU.csdata,"",@progbits
; Kernel info:
; codeLenInByte = 1136
; TotalNumSgprs: 22
; NumVgprs: 20
; ScratchSize: 0
; MemoryBound: 0
; FloatMode: 240
; IeeeMode: 1
; LDSByteSize: 0 bytes/workgroup (compile time only)
; SGPRBlocks: 2
; VGPRBlocks: 4
; NumSGPRsForWavesPerEU: 22
; NumVGPRsForWavesPerEU: 20
; Occupancy: 10
; WaveLimiterHint : 0
; COMPUTE_PGM_RSRC2:SCRATCH_EN: 0
; COMPUTE_PGM_RSRC2:USER_SGPR: 6
; COMPUTE_PGM_RSRC2:TRAP_HANDLER: 0
; COMPUTE_PGM_RSRC2:TGID_X_EN: 1
; COMPUTE_PGM_RSRC2:TGID_Y_EN: 0
; COMPUTE_PGM_RSRC2:TGID_Z_EN: 0
; COMPUTE_PGM_RSRC2:TIDIG_COMP_CNT: 0
	.section	.AMDGPU.gpr_maximums,"",@progbits
	.set amdgpu.max_num_vgpr, 0
	.set amdgpu.max_num_agpr, 0
	.set amdgpu.max_num_sgpr, 0
	.section	.AMDGPU.csdata,"",@progbits
	.type	__hip_cuid_bea6528bfa859981,@object ; @__hip_cuid_bea6528bfa859981
	.section	.bss,"aw",@nobits
	.globl	__hip_cuid_bea6528bfa859981
__hip_cuid_bea6528bfa859981:
	.byte	0                               ; 0x0
	.size	__hip_cuid_bea6528bfa859981, 1

	.ident	"AMD clang version 22.0.0git (https://github.com/RadeonOpenCompute/llvm-project roc-7.2.4 26084 f58b06dce1f9c15707c5f808fd002e18c2accf7e)"
	.section	".note.GNU-stack","",@progbits
	.addrsig
	.addrsig_sym __hip_cuid_bea6528bfa859981
	.amdgpu_metadata
---
amdhsa.kernels:
  - .args:
      - .offset:         0
        .size:           4
        .value_kind:     by_value
      - .offset:         4
        .size:           4
        .value_kind:     by_value
      - .offset:         8
        .size:           12
        .value_kind:     by_value
      - .address_space:  global
        .offset:         24
        .size:           8
        .value_kind:     global_buffer
      - .offset:         32
        .size:           4
        .value_kind:     hidden_block_count_x
      - .offset:         36
        .size:           4
        .value_kind:     hidden_block_count_y
      - .offset:         40
        .size:           4
        .value_kind:     hidden_block_count_z
      - .offset:         44
        .size:           2
        .value_kind:     hidden_group_size_x
      - .offset:         46
        .size:           2
        .value_kind:     hidden_group_size_y
      - .offset:         48
        .size:           2
        .value_kind:     hidden_group_size_z
      - .offset:         50
        .size:           2
        .value_kind:     hidden_remainder_x
      - .offset:         52
        .size:           2
        .value_kind:     hidden_remainder_y
      - .offset:         54
        .size:           2
        .value_kind:     hidden_remainder_z
      - .offset:         72
        .size:           8
        .value_kind:     hidden_global_offset_x
      - .offset:         80
        .size:           8
        .value_kind:     hidden_global_offset_y
      - .offset:         88
        .size:           8
        .value_kind:     hidden_global_offset_z
      - .offset:         96
        .size:           2
        .value_kind:     hidden_grid_dims
    .group_segment_fixed_size: 0
    .kernarg_segment_align: 8
    .kernarg_segment_size: 288
    .language:       OpenCL C
    .language_version:
      - 2
      - 0
    .max_flat_workgroup_size: 1024
    .name:           _Z6rotateif15HIP_vector_typeIfLj3EEPS0_
    .private_segment_fixed_size: 0
    .sgpr_count:     22
    .sgpr_spill_count: 0
    .symbol:         _Z6rotateif15HIP_vector_typeIfLj3EEPS0_.kd
    .uniform_work_group_size: 1
    .uses_dynamic_stack: false
    .vgpr_count:     20
    .vgpr_spill_count: 0
    .wavefront_size: 64
  - .args:
      - .offset:         0
        .size:           4
        .value_kind:     by_value
      - .offset:         4
        .size:           4
        .value_kind:     by_value
      - .offset:         8
        .size:           12
        .value_kind:     by_value
      - .address_space:  global
        .offset:         24
        .size:           8
        .value_kind:     global_buffer
      - .offset:         32
        .size:           4
        .value_kind:     hidden_block_count_x
      - .offset:         36
        .size:           4
        .value_kind:     hidden_block_count_y
      - .offset:         40
        .size:           4
        .value_kind:     hidden_block_count_z
      - .offset:         44
        .size:           2
        .value_kind:     hidden_group_size_x
      - .offset:         46
        .size:           2
        .value_kind:     hidden_group_size_y
      - .offset:         48
        .size:           2
        .value_kind:     hidden_group_size_z
      - .offset:         50
        .size:           2
        .value_kind:     hidden_remainder_x
      - .offset:         52
        .size:           2
        .value_kind:     hidden_remainder_y
      - .offset:         54
        .size:           2
        .value_kind:     hidden_remainder_z
      - .offset:         72
        .size:           8
        .value_kind:     hidden_global_offset_x
      - .offset:         80
        .size:           8
        .value_kind:     hidden_global_offset_y
      - .offset:         88
        .size:           8
        .value_kind:     hidden_global_offset_z
      - .offset:         96
        .size:           2
        .value_kind:     hidden_grid_dims
    .group_segment_fixed_size: 0
    .kernarg_segment_align: 8
    .kernarg_segment_size: 288
    .language:       OpenCL C
    .language_version:
      - 2
      - 0
    .max_flat_workgroup_size: 1024
    .name:           _Z7rotate2if15HIP_vector_typeIfLj3EEPS_IfLj4EE
    .private_segment_fixed_size: 0
    .sgpr_count:     22
    .sgpr_spill_count: 0
    .symbol:         _Z7rotate2if15HIP_vector_typeIfLj3EEPS_IfLj4EE.kd
    .uniform_work_group_size: 1
    .uses_dynamic_stack: false
    .vgpr_count:     20
    .vgpr_spill_count: 0
    .wavefront_size: 64
amdhsa.target:   amdgcn-amd-amdhsa--gfx906
amdhsa.version:
  - 1
  - 2
...

	.end_amdgpu_metadata
